;; amdgpu-corpus repo=ROCm/rocFFT kind=compiled arch=gfx1030 opt=O3
	.text
	.amdgcn_target "amdgcn-amd-amdhsa--gfx1030"
	.amdhsa_code_object_version 6
	.protected	fft_rtc_fwd_len1500_factors_5_10_10_3_wgs_150_tpt_150_halfLds_dp_op_CI_CI_unitstride_sbrr_C2R_dirReg ; -- Begin function fft_rtc_fwd_len1500_factors_5_10_10_3_wgs_150_tpt_150_halfLds_dp_op_CI_CI_unitstride_sbrr_C2R_dirReg
	.globl	fft_rtc_fwd_len1500_factors_5_10_10_3_wgs_150_tpt_150_halfLds_dp_op_CI_CI_unitstride_sbrr_C2R_dirReg
	.p2align	8
	.type	fft_rtc_fwd_len1500_factors_5_10_10_3_wgs_150_tpt_150_halfLds_dp_op_CI_CI_unitstride_sbrr_C2R_dirReg,@function
fft_rtc_fwd_len1500_factors_5_10_10_3_wgs_150_tpt_150_halfLds_dp_op_CI_CI_unitstride_sbrr_C2R_dirReg: ; @fft_rtc_fwd_len1500_factors_5_10_10_3_wgs_150_tpt_150_halfLds_dp_op_CI_CI_unitstride_sbrr_C2R_dirReg
; %bb.0:
	s_clause 0x2
	s_load_dwordx4 s[12:15], s[4:5], 0x0
	s_load_dwordx4 s[8:11], s[4:5], 0x58
	;; [unrolled: 1-line block ×3, first 2 shown]
	v_mul_u32_u24_e32 v1, 0x1b5, v0
	v_mov_b32_e32 v3, 0
	v_add_nc_u32_sdwa v5, s6, v1 dst_sel:DWORD dst_unused:UNUSED_PAD src0_sel:DWORD src1_sel:WORD_1
	v_mov_b32_e32 v1, 0
	v_mov_b32_e32 v6, v3
	v_mov_b32_e32 v2, 0
	s_waitcnt lgkmcnt(0)
	v_cmp_lt_u64_e64 s0, s[14:15], 2
	s_and_b32 vcc_lo, exec_lo, s0
	s_cbranch_vccnz .LBB0_8
; %bb.1:
	s_load_dwordx2 s[0:1], s[4:5], 0x10
	v_mov_b32_e32 v1, 0
	v_mov_b32_e32 v2, 0
	s_add_u32 s2, s18, 8
	s_addc_u32 s3, s19, 0
	s_add_u32 s6, s16, 8
	s_addc_u32 s7, s17, 0
	v_mov_b32_e32 v49, v2
	v_mov_b32_e32 v48, v1
	s_mov_b64 s[22:23], 1
	s_waitcnt lgkmcnt(0)
	s_add_u32 s20, s0, 8
	s_addc_u32 s21, s1, 0
.LBB0_2:                                ; =>This Inner Loop Header: Depth=1
	s_load_dwordx2 s[24:25], s[20:21], 0x0
                                        ; implicit-def: $vgpr50_vgpr51
	s_mov_b32 s0, exec_lo
	s_waitcnt lgkmcnt(0)
	v_or_b32_e32 v4, s25, v6
	v_cmpx_ne_u64_e32 0, v[3:4]
	s_xor_b32 s1, exec_lo, s0
	s_cbranch_execz .LBB0_4
; %bb.3:                                ;   in Loop: Header=BB0_2 Depth=1
	v_cvt_f32_u32_e32 v4, s24
	v_cvt_f32_u32_e32 v7, s25
	s_sub_u32 s0, 0, s24
	s_subb_u32 s26, 0, s25
	v_fmac_f32_e32 v4, 0x4f800000, v7
	v_rcp_f32_e32 v4, v4
	v_mul_f32_e32 v4, 0x5f7ffffc, v4
	v_mul_f32_e32 v7, 0x2f800000, v4
	v_trunc_f32_e32 v7, v7
	v_fmac_f32_e32 v4, 0xcf800000, v7
	v_cvt_u32_f32_e32 v7, v7
	v_cvt_u32_f32_e32 v4, v4
	v_mul_lo_u32 v8, s0, v7
	v_mul_hi_u32 v9, s0, v4
	v_mul_lo_u32 v10, s26, v4
	v_add_nc_u32_e32 v8, v9, v8
	v_mul_lo_u32 v9, s0, v4
	v_add_nc_u32_e32 v8, v8, v10
	v_mul_hi_u32 v10, v4, v9
	v_mul_lo_u32 v11, v4, v8
	v_mul_hi_u32 v12, v4, v8
	v_mul_hi_u32 v13, v7, v9
	v_mul_lo_u32 v9, v7, v9
	v_mul_hi_u32 v14, v7, v8
	v_mul_lo_u32 v8, v7, v8
	v_add_co_u32 v10, vcc_lo, v10, v11
	v_add_co_ci_u32_e32 v11, vcc_lo, 0, v12, vcc_lo
	v_add_co_u32 v9, vcc_lo, v10, v9
	v_add_co_ci_u32_e32 v9, vcc_lo, v11, v13, vcc_lo
	v_add_co_ci_u32_e32 v10, vcc_lo, 0, v14, vcc_lo
	v_add_co_u32 v8, vcc_lo, v9, v8
	v_add_co_ci_u32_e32 v9, vcc_lo, 0, v10, vcc_lo
	v_add_co_u32 v4, vcc_lo, v4, v8
	v_add_co_ci_u32_e32 v7, vcc_lo, v7, v9, vcc_lo
	v_mul_hi_u32 v8, s0, v4
	v_mul_lo_u32 v10, s26, v4
	v_mul_lo_u32 v9, s0, v7
	v_add_nc_u32_e32 v8, v8, v9
	v_mul_lo_u32 v9, s0, v4
	v_add_nc_u32_e32 v8, v8, v10
	v_mul_hi_u32 v10, v4, v9
	v_mul_lo_u32 v11, v4, v8
	v_mul_hi_u32 v12, v4, v8
	v_mul_hi_u32 v13, v7, v9
	v_mul_lo_u32 v9, v7, v9
	v_mul_hi_u32 v14, v7, v8
	v_mul_lo_u32 v8, v7, v8
	v_add_co_u32 v10, vcc_lo, v10, v11
	v_add_co_ci_u32_e32 v11, vcc_lo, 0, v12, vcc_lo
	v_add_co_u32 v9, vcc_lo, v10, v9
	v_add_co_ci_u32_e32 v9, vcc_lo, v11, v13, vcc_lo
	v_add_co_ci_u32_e32 v10, vcc_lo, 0, v14, vcc_lo
	v_add_co_u32 v8, vcc_lo, v9, v8
	v_add_co_ci_u32_e32 v9, vcc_lo, 0, v10, vcc_lo
	v_add_co_u32 v4, vcc_lo, v4, v8
	v_add_co_ci_u32_e32 v11, vcc_lo, v7, v9, vcc_lo
	v_mul_hi_u32 v13, v5, v4
	v_mad_u64_u32 v[9:10], null, v6, v4, 0
	v_mad_u64_u32 v[7:8], null, v5, v11, 0
	;; [unrolled: 1-line block ×3, first 2 shown]
	v_add_co_u32 v4, vcc_lo, v13, v7
	v_add_co_ci_u32_e32 v7, vcc_lo, 0, v8, vcc_lo
	v_add_co_u32 v4, vcc_lo, v4, v9
	v_add_co_ci_u32_e32 v4, vcc_lo, v7, v10, vcc_lo
	v_add_co_ci_u32_e32 v7, vcc_lo, 0, v12, vcc_lo
	v_add_co_u32 v4, vcc_lo, v4, v11
	v_add_co_ci_u32_e32 v9, vcc_lo, 0, v7, vcc_lo
	v_mul_lo_u32 v10, s25, v4
	v_mad_u64_u32 v[7:8], null, s24, v4, 0
	v_mul_lo_u32 v11, s24, v9
	v_sub_co_u32 v7, vcc_lo, v5, v7
	v_add3_u32 v8, v8, v11, v10
	v_sub_nc_u32_e32 v10, v6, v8
	v_subrev_co_ci_u32_e64 v10, s0, s25, v10, vcc_lo
	v_add_co_u32 v11, s0, v4, 2
	v_add_co_ci_u32_e64 v12, s0, 0, v9, s0
	v_sub_co_u32 v13, s0, v7, s24
	v_sub_co_ci_u32_e32 v8, vcc_lo, v6, v8, vcc_lo
	v_subrev_co_ci_u32_e64 v10, s0, 0, v10, s0
	v_cmp_le_u32_e32 vcc_lo, s24, v13
	v_cmp_eq_u32_e64 s0, s25, v8
	v_cndmask_b32_e64 v13, 0, -1, vcc_lo
	v_cmp_le_u32_e32 vcc_lo, s25, v10
	v_cndmask_b32_e64 v14, 0, -1, vcc_lo
	v_cmp_le_u32_e32 vcc_lo, s24, v7
	;; [unrolled: 2-line block ×3, first 2 shown]
	v_cndmask_b32_e64 v15, 0, -1, vcc_lo
	v_cmp_eq_u32_e32 vcc_lo, s25, v10
	v_cndmask_b32_e64 v7, v15, v7, s0
	v_cndmask_b32_e32 v10, v14, v13, vcc_lo
	v_add_co_u32 v13, vcc_lo, v4, 1
	v_add_co_ci_u32_e32 v14, vcc_lo, 0, v9, vcc_lo
	v_cmp_ne_u32_e32 vcc_lo, 0, v10
	v_cndmask_b32_e32 v8, v14, v12, vcc_lo
	v_cndmask_b32_e32 v10, v13, v11, vcc_lo
	v_cmp_ne_u32_e32 vcc_lo, 0, v7
	v_cndmask_b32_e32 v51, v9, v8, vcc_lo
	v_cndmask_b32_e32 v50, v4, v10, vcc_lo
.LBB0_4:                                ;   in Loop: Header=BB0_2 Depth=1
	s_andn2_saveexec_b32 s0, s1
	s_cbranch_execz .LBB0_6
; %bb.5:                                ;   in Loop: Header=BB0_2 Depth=1
	v_cvt_f32_u32_e32 v4, s24
	s_sub_i32 s1, 0, s24
	v_mov_b32_e32 v51, v3
	v_rcp_iflag_f32_e32 v4, v4
	v_mul_f32_e32 v4, 0x4f7ffffe, v4
	v_cvt_u32_f32_e32 v4, v4
	v_mul_lo_u32 v7, s1, v4
	v_mul_hi_u32 v7, v4, v7
	v_add_nc_u32_e32 v4, v4, v7
	v_mul_hi_u32 v4, v5, v4
	v_mul_lo_u32 v7, v4, s24
	v_add_nc_u32_e32 v8, 1, v4
	v_sub_nc_u32_e32 v7, v5, v7
	v_subrev_nc_u32_e32 v9, s24, v7
	v_cmp_le_u32_e32 vcc_lo, s24, v7
	v_cndmask_b32_e32 v7, v7, v9, vcc_lo
	v_cndmask_b32_e32 v4, v4, v8, vcc_lo
	v_cmp_le_u32_e32 vcc_lo, s24, v7
	v_add_nc_u32_e32 v8, 1, v4
	v_cndmask_b32_e32 v50, v4, v8, vcc_lo
.LBB0_6:                                ;   in Loop: Header=BB0_2 Depth=1
	s_or_b32 exec_lo, exec_lo, s0
	v_mul_lo_u32 v4, v51, s24
	v_mul_lo_u32 v9, v50, s25
	s_load_dwordx2 s[0:1], s[6:7], 0x0
	v_mad_u64_u32 v[7:8], null, v50, s24, 0
	s_load_dwordx2 s[24:25], s[2:3], 0x0
	s_add_u32 s22, s22, 1
	s_addc_u32 s23, s23, 0
	s_add_u32 s2, s2, 8
	s_addc_u32 s3, s3, 0
	s_add_u32 s6, s6, 8
	v_add3_u32 v4, v8, v9, v4
	v_sub_co_u32 v5, vcc_lo, v5, v7
	s_addc_u32 s7, s7, 0
	s_add_u32 s20, s20, 8
	v_sub_co_ci_u32_e32 v4, vcc_lo, v6, v4, vcc_lo
	s_addc_u32 s21, s21, 0
	s_waitcnt lgkmcnt(0)
	v_mul_lo_u32 v6, s0, v4
	v_mul_lo_u32 v7, s1, v5
	v_mad_u64_u32 v[1:2], null, s0, v5, v[1:2]
	v_mul_lo_u32 v4, s24, v4
	v_mul_lo_u32 v8, s25, v5
	v_mad_u64_u32 v[48:49], null, s24, v5, v[48:49]
	v_cmp_ge_u64_e64 s0, s[22:23], s[14:15]
	v_add3_u32 v2, v7, v2, v6
	v_add3_u32 v49, v8, v49, v4
	s_and_b32 vcc_lo, exec_lo, s0
	s_cbranch_vccnz .LBB0_9
; %bb.7:                                ;   in Loop: Header=BB0_2 Depth=1
	v_mov_b32_e32 v5, v50
	v_mov_b32_e32 v6, v51
	s_branch .LBB0_2
.LBB0_8:
	v_mov_b32_e32 v49, v2
	v_mov_b32_e32 v51, v6
	;; [unrolled: 1-line block ×4, first 2 shown]
.LBB0_9:
	s_load_dwordx2 s[0:1], s[4:5], 0x28
	v_mul_hi_u32 v3, 0x1b4e81c, v0
	s_lshl_b64 s[4:5], s[14:15], 3
                                        ; implicit-def: $vgpr52
	s_add_u32 s2, s18, s4
	s_addc_u32 s3, s19, s5
	s_waitcnt lgkmcnt(0)
	v_cmp_gt_u64_e32 vcc_lo, s[0:1], v[50:51]
	v_cmp_le_u64_e64 s0, s[0:1], v[50:51]
	s_and_saveexec_b32 s1, s0
	s_xor_b32 s0, exec_lo, s1
; %bb.10:
	v_mul_u32_u24_e32 v1, 0x96, v3
                                        ; implicit-def: $vgpr3
	v_sub_nc_u32_e32 v52, v0, v1
                                        ; implicit-def: $vgpr0
                                        ; implicit-def: $vgpr1_vgpr2
; %bb.11:
	s_or_saveexec_b32 s1, s0
	s_load_dwordx2 s[2:3], s[2:3], 0x0
	s_xor_b32 exec_lo, exec_lo, s1
	s_cbranch_execz .LBB0_15
; %bb.12:
	s_add_u32 s4, s16, s4
	s_addc_u32 s5, s17, s5
	v_lshlrev_b64 v[1:2], 4, v[1:2]
	s_load_dwordx2 s[4:5], s[4:5], 0x0
	s_waitcnt lgkmcnt(0)
	v_mul_lo_u32 v6, s5, v50
	v_mul_lo_u32 v7, s4, v51
	v_mad_u64_u32 v[4:5], null, s4, v50, 0
	s_mov_b32 s4, exec_lo
	v_add3_u32 v5, v5, v7, v6
	v_mul_u32_u24_e32 v6, 0x96, v3
	v_lshlrev_b64 v[3:4], 4, v[4:5]
	v_sub_nc_u32_e32 v52, v0, v6
	v_lshlrev_b32_e32 v42, 4, v52
	v_add_co_u32 v0, s0, s8, v3
	v_add_co_ci_u32_e64 v3, s0, s9, v4, s0
	v_add_co_u32 v0, s0, v0, v1
	v_add_co_ci_u32_e64 v1, s0, v3, v2, s0
	;; [unrolled: 2-line block ×3, first 2 shown]
	v_add_nc_u32_e32 v42, 0, v42
	v_add_co_u32 v6, s0, 0x800, v2
	v_add_co_ci_u32_e64 v7, s0, 0, v3, s0
	v_add_co_u32 v10, s0, 0x1000, v2
	v_add_co_ci_u32_e64 v11, s0, 0, v3, s0
	;; [unrolled: 2-line block ×9, first 2 shown]
	s_clause 0x9
	global_load_dwordx4 v[2:5], v[2:3], off
	global_load_dwordx4 v[6:9], v[6:7], off offset:352
	global_load_dwordx4 v[10:13], v[10:11], off offset:704
	;; [unrolled: 1-line block ×9, first 2 shown]
	s_waitcnt vmcnt(9)
	ds_write_b128 v42, v[2:5]
	s_waitcnt vmcnt(8)
	ds_write_b128 v42, v[6:9] offset:2400
	s_waitcnt vmcnt(7)
	ds_write_b128 v42, v[10:13] offset:4800
	;; [unrolled: 2-line block ×9, first 2 shown]
	v_cmpx_eq_u32_e32 0x95, v52
	s_cbranch_execz .LBB0_14
; %bb.13:
	v_add_co_u32 v0, s0, 0x5800, v0
	v_add_co_ci_u32_e64 v1, s0, 0, v1, s0
	v_mov_b32_e32 v4, 0
	v_mov_b32_e32 v52, 0x95
	global_load_dwordx4 v[0:3], v[0:1], off offset:1472
	s_waitcnt vmcnt(0)
	ds_write_b128 v4, v[0:3] offset:24000
.LBB0_14:
	s_or_b32 exec_lo, exec_lo, s4
.LBB0_15:
	s_or_b32 exec_lo, exec_lo, s1
	v_lshlrev_b32_e32 v0, 4, v52
	s_waitcnt lgkmcnt(0)
	s_barrier
	buffer_gl0_inv
	s_add_u32 s1, s12, 0x5d70
	v_add_nc_u32_e32 v59, 0, v0
	v_sub_nc_u32_e32 v8, 0, v0
	s_addc_u32 s4, s13, 0
	s_mov_b32 s5, exec_lo
	ds_read_b64 v[4:5], v59
	ds_read_b64 v[6:7], v8 offset:24000
	s_waitcnt lgkmcnt(0)
	v_add_f64 v[0:1], v[4:5], v[6:7]
	v_add_f64 v[2:3], v[4:5], -v[6:7]
	v_cmpx_ne_u32_e32 0, v52
	s_xor_b32 s5, exec_lo, s5
	s_cbranch_execz .LBB0_17
; %bb.16:
	v_mov_b32_e32 v53, 0
	v_add_f64 v[13:14], v[4:5], v[6:7]
	v_add_f64 v[15:16], v[4:5], -v[6:7]
	v_lshlrev_b64 v[0:1], 4, v[52:53]
	v_add_co_u32 v0, s0, s1, v0
	v_add_co_ci_u32_e64 v1, s0, s4, v1, s0
	global_load_dwordx4 v[9:12], v[0:1], off
	ds_read_b64 v[0:1], v8 offset:24008
	ds_read_b64 v[2:3], v59 offset:8
	s_waitcnt lgkmcnt(0)
	v_add_f64 v[4:5], v[0:1], v[2:3]
	v_add_f64 v[0:1], v[2:3], -v[0:1]
	s_waitcnt vmcnt(0)
	v_fma_f64 v[2:3], v[15:16], v[11:12], v[13:14]
	v_fma_f64 v[6:7], -v[15:16], v[11:12], v[13:14]
	v_fma_f64 v[13:14], v[4:5], v[11:12], -v[0:1]
	v_fma_f64 v[11:12], v[4:5], v[11:12], v[0:1]
	v_fma_f64 v[0:1], -v[4:5], v[9:10], v[2:3]
	v_fma_f64 v[4:5], v[4:5], v[9:10], v[6:7]
	v_fma_f64 v[6:7], v[15:16], v[9:10], v[13:14]
	;; [unrolled: 1-line block ×3, first 2 shown]
	ds_write_b128 v8, v[4:7] offset:24000
.LBB0_17:
	s_andn2_saveexec_b32 s0, s5
	s_cbranch_execz .LBB0_19
; %bb.18:
	v_mov_b32_e32 v9, 0
	ds_read_b128 v[4:7], v9 offset:12000
	s_waitcnt lgkmcnt(0)
	v_add_f64 v[4:5], v[4:5], v[4:5]
	v_mul_f64 v[6:7], v[6:7], -2.0
	ds_write_b128 v9, v[4:7] offset:12000
.LBB0_19:
	s_or_b32 exec_lo, exec_lo, s0
	v_add_nc_u32_e32 v55, 0x96, v52
	v_mov_b32_e32 v56, 0
	v_add_nc_u32_e32 v57, 0x12c, v52
	v_add_nc_u32_e32 v53, 0x1c2, v52
	;; [unrolled: 1-line block ×3, first 2 shown]
	ds_write_b128 v59, v[0:3]
	v_lshlrev_b64 v[4:5], 4, v[55:56]
	v_mov_b32_e32 v58, v56
	v_mov_b32_e32 v54, v56
	;; [unrolled: 1-line block ×3, first 2 shown]
	s_mov_b32 s6, 0x4755a5e
	s_mov_b32 s7, 0x3fe2cf23
	v_add_co_u32 v4, s0, s1, v4
	v_add_co_ci_u32_e64 v5, s0, s4, v5, s0
	v_lshlrev_b64 v[9:10], 4, v[57:58]
	v_lshlrev_b64 v[13:14], 4, v[53:54]
	;; [unrolled: 1-line block ×3, first 2 shown]
	global_load_dwordx4 v[4:7], v[4:5], off
	s_mov_b32 s9, 0xbfe2cf23
	s_mov_b32 s8, s6
	v_add_co_u32 v9, s0, s1, v9
	v_add_co_ci_u32_e64 v10, s0, s4, v10, s0
	v_add_co_u32 v13, s0, s1, v13
	v_add_co_ci_u32_e64 v14, s0, s4, v14, s0
	global_load_dwordx4 v[9:12], v[9:10], off
	v_add_co_u32 v21, s0, s1, v17
	global_load_dwordx4 v[13:16], v[13:14], off
	v_add_co_ci_u32_e64 v22, s0, s4, v18, s0
	ds_read_b128 v[0:3], v59 offset:2400
	ds_read_b128 v[17:20], v8 offset:21600
	s_mov_b32 s4, 0x134454ff
	s_mov_b32 s5, 0x3fee6f0e
	global_load_dwordx4 v[21:24], v[21:22], off
	s_mov_b32 s1, 0xbfee6f0e
	s_mov_b32 s0, s4
	;; [unrolled: 1-line block ×6, first 2 shown]
	s_waitcnt lgkmcnt(0)
	v_add_f64 v[25:26], v[0:1], v[17:18]
	v_add_f64 v[27:28], v[19:20], v[2:3]
	v_add_f64 v[29:30], v[0:1], -v[17:18]
	v_add_f64 v[0:1], v[2:3], -v[19:20]
	s_waitcnt vmcnt(3)
	v_fma_f64 v[2:3], v[29:30], v[6:7], v[25:26]
	v_fma_f64 v[17:18], v[27:28], v[6:7], v[0:1]
	v_fma_f64 v[19:20], -v[29:30], v[6:7], v[25:26]
	v_fma_f64 v[6:7], v[27:28], v[6:7], -v[0:1]
	v_fma_f64 v[0:1], -v[27:28], v[4:5], v[2:3]
	v_fma_f64 v[2:3], v[29:30], v[4:5], v[17:18]
	v_fma_f64 v[17:18], v[27:28], v[4:5], v[19:20]
	v_fma_f64 v[19:20], v[29:30], v[4:5], v[6:7]
	ds_write_b128 v59, v[0:3] offset:2400
	ds_write_b128 v8, v[17:20] offset:21600
	ds_read_b128 v[0:3], v59 offset:4800
	ds_read_b128 v[4:7], v8 offset:19200
	s_waitcnt lgkmcnt(0)
	v_add_f64 v[17:18], v[0:1], v[4:5]
	v_add_f64 v[19:20], v[6:7], v[2:3]
	v_add_f64 v[25:26], v[0:1], -v[4:5]
	v_add_f64 v[0:1], v[2:3], -v[6:7]
	s_waitcnt vmcnt(2)
	v_fma_f64 v[2:3], v[25:26], v[11:12], v[17:18]
	v_fma_f64 v[4:5], v[19:20], v[11:12], v[0:1]
	v_fma_f64 v[6:7], -v[25:26], v[11:12], v[17:18]
	v_fma_f64 v[11:12], v[19:20], v[11:12], -v[0:1]
	v_fma_f64 v[0:1], -v[19:20], v[9:10], v[2:3]
	v_fma_f64 v[2:3], v[25:26], v[9:10], v[4:5]
	v_fma_f64 v[4:5], v[19:20], v[9:10], v[6:7]
	v_fma_f64 v[6:7], v[25:26], v[9:10], v[11:12]
	ds_write_b128 v59, v[0:3] offset:4800
	ds_write_b128 v8, v[4:7] offset:19200
	ds_read_b128 v[0:3], v59 offset:7200
	ds_read_b128 v[4:7], v8 offset:16800
	;; [unrolled: 18-line block ×3, first 2 shown]
	s_waitcnt lgkmcnt(0)
	v_add_f64 v[9:10], v[0:1], v[4:5]
	v_add_f64 v[11:12], v[6:7], v[2:3]
	v_add_f64 v[13:14], v[0:1], -v[4:5]
	v_add_f64 v[0:1], v[2:3], -v[6:7]
	s_waitcnt vmcnt(0)
	v_fma_f64 v[2:3], v[13:14], v[23:24], v[9:10]
	v_fma_f64 v[4:5], v[11:12], v[23:24], v[0:1]
	v_fma_f64 v[6:7], -v[13:14], v[23:24], v[9:10]
	v_fma_f64 v[9:10], v[11:12], v[23:24], -v[0:1]
	v_fma_f64 v[0:1], -v[11:12], v[21:22], v[2:3]
	v_fma_f64 v[2:3], v[13:14], v[21:22], v[4:5]
	v_fma_f64 v[4:5], v[11:12], v[21:22], v[6:7]
	;; [unrolled: 1-line block ×3, first 2 shown]
	ds_write_b128 v59, v[0:3] offset:9600
	ds_write_b128 v8, v[4:7] offset:14400
	s_waitcnt lgkmcnt(0)
	s_barrier
	buffer_gl0_inv
	s_barrier
	buffer_gl0_inv
	ds_read_b128 v[0:3], v59
	ds_read_b128 v[4:7], v59 offset:4800
	ds_read_b128 v[8:11], v59 offset:9600
	;; [unrolled: 1-line block ×9, first 2 shown]
	s_waitcnt lgkmcnt(0)
	s_barrier
	buffer_gl0_inv
	v_add_f64 v[42:43], v[2:3], v[6:7]
	v_add_f64 v[62:63], v[8:9], -v[4:5]
	v_add_f64 v[44:45], v[8:9], v[12:13]
	v_add_f64 v[64:65], v[4:5], v[18:19]
	v_add_f64 v[66:67], v[10:11], v[14:15]
	v_add_f64 v[68:69], v[6:7], v[20:21]
	v_add_f64 v[74:75], v[26:27], v[30:31]
	v_add_f64 v[76:77], v[22:23], v[34:35]
	v_add_f64 v[78:79], v[28:29], v[32:33]
	v_add_f64 v[80:81], v[24:25], v[36:37]
	v_add_f64 v[84:85], v[38:39], v[22:23]
	v_add_f64 v[86:87], v[40:41], v[24:25]
	v_add_f64 v[90:91], v[12:13], -v[18:19]
	v_add_f64 v[16:17], v[0:1], v[4:5]
	v_add_f64 v[60:61], v[4:5], -v[8:9]
	v_add_f64 v[88:89], v[18:19], -v[12:13]
	;; [unrolled: 1-line block ×8, first 2 shown]
	v_add_f64 v[10:11], v[42:43], v[10:11]
	v_add_f64 v[42:43], v[14:15], -v[20:21]
	v_add_f64 v[94:95], v[28:29], -v[32:33]
	v_fma_f64 v[44:45], v[44:45], -0.5, v[0:1]
	v_fma_f64 v[0:1], v[64:65], -0.5, v[0:1]
	v_fma_f64 v[64:65], v[66:67], -0.5, v[2:3]
	v_fma_f64 v[2:3], v[68:69], -0.5, v[2:3]
	v_add_f64 v[66:67], v[22:23], -v[26:27]
	v_add_f64 v[68:69], v[26:27], -v[22:23]
	v_fma_f64 v[74:75], v[74:75], -0.5, v[38:39]
	v_fma_f64 v[38:39], v[76:77], -0.5, v[38:39]
	;; [unrolled: 1-line block ×4, first 2 shown]
	v_add_f64 v[78:79], v[26:27], -v[30:31]
	v_add_f64 v[80:81], v[24:25], -v[28:29]
	v_add_f64 v[26:27], v[84:85], v[26:27]
	v_add_f64 v[84:85], v[86:87], v[28:29]
	v_add_f64 v[28:29], v[28:29], -v[24:25]
	v_add_f64 v[62:63], v[62:63], v[90:91]
	v_add_f64 v[90:91], v[32:33], -v[36:37]
	v_add_f64 v[70:71], v[8:9], -v[12:13]
	v_add_f64 v[8:9], v[16:17], v[8:9]
	v_add_f64 v[24:25], v[24:25], -v[36:37]
	;; [unrolled: 3-line block ×4, first 2 shown]
	v_add_f64 v[42:43], v[82:83], v[42:43]
	v_add_f64 v[10:11], v[10:11], v[14:15]
	v_fma_f64 v[15:16], v[6:7], s[4:5], v[44:45]
	v_and_b32_e32 v17, 0xff, v52
	v_mul_lo_u16 v54, 0xcd, v17
	v_add_f64 v[82:83], v[28:29], v[90:91]
	v_fma_f64 v[28:29], v[4:5], s[0:1], v[64:65]
	v_add_f64 v[8:9], v[8:9], v[12:13]
	v_add_f64 v[12:13], v[26:27], v[30:31]
	;; [unrolled: 1-line block ×3, first 2 shown]
	v_fma_f64 v[30:31], v[6:7], s[0:1], v[44:45]
	v_fma_f64 v[32:33], v[4:5], s[4:5], v[64:65]
	;; [unrolled: 1-line block ×6, first 2 shown]
	v_add_f64 v[68:69], v[68:69], v[88:89]
	v_fma_f64 v[84:85], v[94:95], s[0:1], v[38:39]
	v_fma_f64 v[38:39], v[94:95], s[4:5], v[38:39]
	;; [unrolled: 1-line block ×4, first 2 shown]
	v_add_f64 v[66:67], v[66:67], v[86:87]
	v_fma_f64 v[86:87], v[78:79], s[4:5], v[40:41]
	v_fma_f64 v[40:41], v[78:79], s[0:1], v[40:41]
	;; [unrolled: 1-line block ×4, first 2 shown]
	v_add_f64 v[80:81], v[80:81], v[92:93]
	v_fma_f64 v[92:93], v[46:47], s[6:7], v[15:16]
	v_fma_f64 v[28:29], v[70:71], s[8:9], v[28:29]
	v_lshrrev_b16 v14, 10, v54
	v_mov_b32_e32 v15, 9
	v_fma_f64 v[30:31], v[46:47], s[8:9], v[30:31]
	v_fma_f64 v[32:33], v[70:71], s[6:7], v[32:33]
	;; [unrolled: 1-line block ×6, first 2 shown]
	v_add_f64 v[0:1], v[8:9], v[18:19]
	v_fma_f64 v[84:85], v[24:25], s[6:7], v[84:85]
	v_fma_f64 v[38:39], v[24:25], s[8:9], v[38:39]
	;; [unrolled: 1-line block ×4, first 2 shown]
	v_add_f64 v[2:3], v[10:11], v[20:21]
	v_fma_f64 v[86:87], v[22:23], s[8:9], v[86:87]
	v_fma_f64 v[96:97], v[22:23], s[6:7], v[40:41]
	;; [unrolled: 1-line block ×4, first 2 shown]
	v_add_f64 v[4:5], v[12:13], v[34:35]
	v_add_f64 v[6:7], v[26:27], v[36:37]
	v_mul_lo_u16 v54, v14, 5
	v_fma_f64 v[8:9], v[60:61], s[14:15], v[92:93]
	v_fma_f64 v[10:11], v[72:73], s[14:15], v[28:29]
	v_lshl_add_u32 v13, v52, 6, v59
	v_fma_f64 v[18:19], v[60:61], s[14:15], v[30:31]
	v_fma_f64 v[20:21], v[72:73], s[14:15], v[32:33]
	;; [unrolled: 1-line block ×6, first 2 shown]
	v_sub_nc_u16 v16, v52, v54
	v_fma_f64 v[30:31], v[68:69], s[14:15], v[84:85]
	v_fma_f64 v[34:35], v[68:69], s[14:15], v[38:39]
	;; [unrolled: 1-line block ×4, first 2 shown]
	v_mul_u32_u24_sdwa v12, v16, v15 dst_sel:DWORD dst_unused:UNUSED_PAD src0_sel:BYTE_0 src1_sel:DWORD
	v_fma_f64 v[32:33], v[82:83], s[14:15], v[86:87]
	v_fma_f64 v[36:37], v[82:83], s[14:15], v[96:97]
	;; [unrolled: 1-line block ×4, first 2 shown]
	v_lshlrev_b32_e32 v12, 4, v12
	ds_write_b128 v13, v[0:3]
	ds_write_b128 v13, v[4:7] offset:12000
	ds_write_b128 v13, v[8:11] offset:16
	;; [unrolled: 1-line block ×9, first 2 shown]
	s_waitcnt lgkmcnt(0)
	s_barrier
	buffer_gl0_inv
	s_clause 0x8
	global_load_dwordx4 v[0:3], v12, s[12:13] offset:16
	global_load_dwordx4 v[4:7], v12, s[12:13] offset:48
	global_load_dwordx4 v[8:11], v12, s[12:13] offset:80
	global_load_dwordx4 v[18:21], v12, s[12:13] offset:112
	global_load_dwordx4 v[22:25], v12, s[12:13] offset:64
	global_load_dwordx4 v[26:29], v12, s[12:13] offset:96
	global_load_dwordx4 v[30:33], v12, s[12:13] offset:32
	global_load_dwordx4 v[34:37], v12, s[12:13] offset:128
	global_load_dwordx4 v[38:41], v12, s[12:13]
	ds_read_b128 v[42:45], v59 offset:4800
	ds_read_b128 v[60:63], v59 offset:9600
	;; [unrolled: 1-line block ×7, first 2 shown]
	v_mul_lo_u16 v54, v17, 41
	s_waitcnt vmcnt(8) lgkmcnt(6)
	v_mul_f64 v[12:13], v[44:45], v[2:3]
	v_mul_f64 v[2:3], v[42:43], v[2:3]
	s_waitcnt vmcnt(7) lgkmcnt(5)
	v_mul_f64 v[46:47], v[62:63], v[6:7]
	v_mul_f64 v[6:7], v[60:61], v[6:7]
	;; [unrolled: 3-line block ×3, first 2 shown]
	s_waitcnt vmcnt(4) lgkmcnt(1)
	v_mul_f64 v[92:93], v[78:79], v[24:25]
	s_waitcnt vmcnt(2)
	v_mul_f64 v[94:95], v[66:67], v[32:33]
	v_mul_f64 v[32:33], v[64:65], v[32:33]
	;; [unrolled: 1-line block ×3, first 2 shown]
	v_fma_f64 v[88:89], v[42:43], v[0:1], -v[12:13]
	ds_read_b128 v[10:13], v59 offset:21600
	v_fma_f64 v[90:91], v[44:45], v[0:1], v[2:3]
	v_mul_f64 v[0:1], v[74:75], v[20:21]
	v_mul_f64 v[2:3], v[72:73], v[20:21]
	v_fma_f64 v[46:47], v[60:61], v[4:5], -v[46:47]
	v_fma_f64 v[60:61], v[62:63], v[4:5], v[6:7]
	s_waitcnt lgkmcnt(1)
	v_mul_f64 v[62:63], v[82:83], v[28:29]
	ds_read_b128 v[42:45], v59 offset:2400
	v_fma_f64 v[4:5], v[68:69], v[8:9], -v[84:85]
	v_fma_f64 v[6:7], v[70:71], v[8:9], v[86:87]
	v_mul_f64 v[28:29], v[80:81], v[28:29]
	s_waitcnt vmcnt(1) lgkmcnt(1)
	v_mul_f64 v[68:69], v[12:13], v[36:37]
	v_mul_f64 v[36:37], v[10:11], v[36:37]
	v_fma_f64 v[0:1], v[72:73], v[18:19], -v[0:1]
	v_fma_f64 v[2:3], v[74:75], v[18:19], v[2:3]
	ds_read_b128 v[18:21], v59
	s_waitcnt vmcnt(0) lgkmcnt(1)
	v_mul_f64 v[70:71], v[44:45], v[40:41]
	v_fma_f64 v[72:73], v[76:77], v[22:23], -v[92:93]
	v_fma_f64 v[8:9], v[80:81], v[26:27], -v[62:63]
	;; [unrolled: 1-line block ×3, first 2 shown]
	v_fma_f64 v[30:31], v[66:67], v[30:31], v[32:33]
	v_mul_f64 v[32:33], v[42:43], v[40:41]
	v_fma_f64 v[22:23], v[78:79], v[22:23], v[24:25]
	v_fma_f64 v[24:25], v[82:83], v[26:27], v[28:29]
	v_add_f64 v[28:29], v[46:47], v[4:5]
	v_add_f64 v[40:41], v[60:61], v[6:7]
	v_add_f64 v[64:65], v[88:89], -v[46:47]
	s_waitcnt lgkmcnt(0)
	s_barrier
	buffer_gl0_inv
	v_fma_f64 v[10:11], v[10:11], v[34:35], -v[68:69]
	v_fma_f64 v[12:13], v[12:13], v[34:35], v[36:37]
	v_add_f64 v[68:69], v[46:47], -v[88:89]
	v_add_f64 v[34:35], v[88:89], v[0:1]
	v_add_f64 v[66:67], v[0:1], -v[4:5]
	v_add_f64 v[84:85], v[20:21], v[90:91]
	v_fma_f64 v[26:27], v[42:43], v[38:39], -v[70:71]
	v_add_f64 v[42:43], v[90:91], v[2:3]
	v_add_f64 v[36:37], v[72:73], v[8:9]
	v_add_f64 v[74:75], v[62:63], -v[72:73]
	v_add_f64 v[70:71], v[4:5], -v[0:1]
	v_fma_f64 v[32:33], v[44:45], v[38:39], v[32:33]
	v_add_f64 v[44:45], v[18:19], v[88:89]
	v_add_f64 v[86:87], v[22:23], v[24:25]
	v_fma_f64 v[28:29], v[28:29], -0.5, v[18:19]
	v_add_f64 v[78:79], v[72:73], -v[62:63]
	v_add_f64 v[88:89], v[88:89], -v[0:1]
	;; [unrolled: 1-line block ×3, first 2 shown]
	v_add_f64 v[80:81], v[62:63], v[10:11]
	v_add_f64 v[38:39], v[30:31], v[12:13]
	v_add_f64 v[92:93], v[30:31], -v[12:13]
	v_fma_f64 v[18:19], v[34:35], -0.5, v[18:19]
	v_add_f64 v[82:83], v[8:9], -v[10:11]
	v_add_f64 v[64:65], v[64:65], v[66:67]
	v_add_f64 v[66:67], v[22:23], -v[30:31]
	v_add_f64 v[84:85], v[84:85], v[60:61]
	v_fma_f64 v[34:35], v[36:37], -0.5, v[26:27]
	v_fma_f64 v[36:37], v[40:41], -0.5, v[20:21]
	;; [unrolled: 1-line block ×3, first 2 shown]
	v_add_f64 v[40:41], v[30:31], -v[22:23]
	v_add_f64 v[42:43], v[12:13], -v[24:25]
	v_add_f64 v[30:31], v[32:33], v[30:31]
	v_add_f64 v[68:69], v[68:69], v[70:71]
	v_add_f64 v[70:71], v[24:25], -v[12:13]
	v_add_f64 v[44:45], v[44:45], v[46:47]
	v_add_f64 v[46:47], v[46:47], -v[4:5]
	;; [unrolled: 2-line block ×3, first 2 shown]
	v_fma_f64 v[80:81], v[80:81], -0.5, v[26:27]
	v_fma_f64 v[38:39], v[38:39], -0.5, v[32:33]
	v_add_f64 v[26:27], v[26:27], v[62:63]
	v_fma_f64 v[32:33], v[86:87], -0.5, v[32:33]
	v_add_f64 v[62:63], v[62:63], -v[10:11]
	v_add_f64 v[78:79], v[78:79], v[82:83]
	v_add_f64 v[82:83], v[72:73], -v[8:9]
	v_fma_f64 v[86:87], v[92:93], s[4:5], v[34:35]
	v_fma_f64 v[34:35], v[92:93], s[0:1], v[34:35]
	v_add_f64 v[40:41], v[40:41], v[42:43]
	v_add_f64 v[22:23], v[30:31], v[22:23]
	;; [unrolled: 1-line block ×4, first 2 shown]
	v_lshrrev_b16 v4, 11, v54
	v_fma_f64 v[42:43], v[76:77], s[0:1], v[80:81]
	v_fma_f64 v[80:81], v[76:77], s[4:5], v[80:81]
	v_add_f64 v[26:27], v[26:27], v[72:73]
	v_add_f64 v[72:73], v[2:3], -v[6:7]
	v_fma_f64 v[70:71], v[82:83], s[4:5], v[38:39]
	v_fma_f64 v[86:87], v[76:77], s[6:7], v[86:87]
	;; [unrolled: 1-line block ×6, first 2 shown]
	v_add_f64 v[22:23], v[22:23], v[24:25]
	v_add_f64 v[44:45], v[44:45], v[0:1]
	v_mul_lo_u16 v0, v4, 50
	v_fma_f64 v[42:43], v[92:93], s[6:7], v[42:43]
	v_fma_f64 v[80:81], v[92:93], s[8:9], v[80:81]
	v_add_f64 v[92:93], v[90:91], -v[2:3]
	v_fma_f64 v[70:71], v[62:63], s[8:9], v[70:71]
	v_fma_f64 v[86:87], v[74:75], s[14:15], v[86:87]
	;; [unrolled: 1-line block ×5, first 2 shown]
	v_add_f64 v[62:63], v[90:91], -v[60:61]
	v_add_f64 v[90:91], v[60:61], -v[90:91]
	;; [unrolled: 1-line block ×3, first 2 shown]
	v_fma_f64 v[32:33], v[82:83], s[6:7], v[32:33]
	v_add_f64 v[82:83], v[6:7], -v[2:3]
	v_add_f64 v[5:6], v[84:85], v[6:7]
	v_add_f64 v[7:8], v[26:27], v[8:9]
	v_fma_f64 v[42:43], v[78:79], s[14:15], v[42:43]
	v_fma_f64 v[78:79], v[78:79], s[14:15], v[80:81]
	;; [unrolled: 1-line block ×7, first 2 shown]
	v_mul_f64 v[84:85], v[34:35], s[16:17]
	v_fma_f64 v[76:77], v[40:41], s[14:15], v[76:77]
	v_fma_f64 v[38:39], v[66:67], s[14:15], v[38:39]
	;; [unrolled: 1-line block ×7, first 2 shown]
	v_add_f64 v[40:41], v[62:63], v[72:73]
	v_mul_f64 v[72:73], v[86:87], s[8:9]
	v_add_f64 v[62:63], v[90:91], v[82:83]
	v_add_f64 v[90:91], v[5:6], v[2:3]
	v_add_f64 v[7:8], v[7:8], v[10:11]
	v_add_f64 v[9:10], v[22:23], v[12:13]
	v_sub_nc_u16 v6, v52, v0
	v_mov_b32_e32 v13, 0x320
	v_fma_f64 v[24:25], v[60:61], s[6:7], v[30:31]
	v_fma_f64 v[26:27], v[60:61], s[8:9], v[28:29]
	v_fma_f64 v[30:31], v[46:47], s[8:9], v[80:81]
	v_mul_f64 v[80:81], v[42:43], s[0:1]
	v_fma_f64 v[36:37], v[46:47], s[6:7], v[36:37]
	v_mul_f64 v[46:47], v[78:79], s[14:15]
	v_mov_b32_e32 v5, 4
	v_mul_f64 v[60:61], v[76:77], s[6:7]
	v_mul_f64 v[82:83], v[38:39], s[14:15]
	v_fma_f64 v[66:67], v[88:89], s[8:9], v[66:67]
	v_fma_f64 v[28:29], v[92:93], s[6:7], v[74:75]
	v_mul_f64 v[74:75], v[70:71], s[4:5]
	v_fma_f64 v[17:18], v[92:93], s[8:9], v[18:19]
	v_fma_f64 v[19:20], v[88:89], s[6:7], v[20:21]
	v_mul_f64 v[88:89], v[32:33], s[16:17]
	v_add_f64 v[0:1], v[44:45], v[7:8]
	v_add_f64 v[2:3], v[90:91], v[9:10]
	v_add_f64 v[7:8], v[44:45], -v[7:8]
	v_add_f64 v[9:10], v[90:91], -v[9:10]
	v_fma_f64 v[11:12], v[64:65], s[14:15], v[24:25]
	v_fma_f64 v[64:65], v[64:65], s[14:15], v[26:27]
	;; [unrolled: 1-line block ×4, first 2 shown]
	v_fma_f64 v[72:73], v[32:33], s[6:7], -v[84:85]
	v_fma_f64 v[46:47], v[38:39], s[4:5], -v[46:47]
	v_fma_f64 v[21:22], v[86:87], s[16:17], v[60:61]
	v_fma_f64 v[66:67], v[62:63], s[14:15], v[66:67]
	;; [unrolled: 1-line block ×7, first 2 shown]
	v_fma_f64 v[70:71], v[78:79], s[0:1], -v[82:83]
	v_fma_f64 v[68:69], v[40:41], s[14:15], v[36:37]
	v_fma_f64 v[74:75], v[34:35], s[8:9], -v[88:89]
	v_add_f64 v[19:20], v[23:24], v[25:26]
	v_add_f64 v[23:24], v[23:24], -v[25:26]
	v_add_f64 v[37:38], v[64:65], v[72:73]
	v_add_f64 v[17:18], v[11:12], v[21:22]
	v_add_f64 v[21:22], v[11:12], -v[21:22]
	v_mul_u32_u24_sdwa v11, v14, v13 dst_sel:DWORD dst_unused:UNUSED_PAD src0_sel:WORD_0 src1_sel:DWORD
	v_lshlrev_b32_sdwa v12, v5, v16 dst_sel:DWORD dst_unused:UNUSED_PAD src0_sel:DWORD src1_sel:BYTE_0
	v_mul_u32_u24_sdwa v13, v6, v15 dst_sel:DWORD dst_unused:UNUSED_PAD src0_sel:BYTE_0 src1_sel:DWORD
	v_add_f64 v[25:26], v[92:93], v[29:30]
	v_add_f64 v[27:28], v[66:67], v[42:43]
	;; [unrolled: 1-line block ×3, first 2 shown]
	v_add_f64 v[29:30], v[92:93], -v[29:30]
	v_add_f64 v[35:36], v[62:63], v[70:71]
	v_add_f64 v[31:32], v[66:67], -v[42:43]
	v_add_f64 v[39:40], v[68:69], v[74:75]
	v_add_f64 v[41:42], v[60:61], -v[46:47]
	v_add_f64 v[43:44], v[62:63], -v[70:71]
	;; [unrolled: 1-line block ×4, first 2 shown]
	v_add3_u32 v11, 0, v11, v12
	v_lshlrev_b32_e32 v45, 4, v13
	ds_write_b128 v11, v[0:3]
	ds_write_b128 v11, v[7:10] offset:400
	ds_write_b128 v11, v[17:20] offset:80
	;; [unrolled: 1-line block ×9, first 2 shown]
	s_waitcnt lgkmcnt(0)
	s_barrier
	buffer_gl0_inv
	s_clause 0x8
	global_load_dwordx4 v[0:3], v45, s[12:13] offset:736
	global_load_dwordx4 v[7:10], v45, s[12:13] offset:768
	;; [unrolled: 1-line block ×9, first 2 shown]
	ds_read_b128 v[39:42], v59 offset:4800
	ds_read_b128 v[43:46], v59 offset:9600
	;; [unrolled: 1-line block ×8, first 2 shown]
	v_mov_b32_e32 v47, 0x1f40
	v_lshlrev_b32_sdwa v5, v5, v6 dst_sel:DWORD dst_unused:UNUSED_PAD src0_sel:DWORD src1_sel:BYTE_0
	v_mul_u32_u24_sdwa v4, v4, v47 dst_sel:DWORD dst_unused:UNUSED_PAD src0_sel:WORD_0 src1_sel:DWORD
	v_add3_u32 v4, 0, v4, v5
	s_waitcnt vmcnt(8) lgkmcnt(7)
	v_mul_f64 v[84:85], v[41:42], v[2:3]
	s_waitcnt vmcnt(7) lgkmcnt(6)
	v_mul_f64 v[86:87], v[45:46], v[9:10]
	s_waitcnt vmcnt(6) lgkmcnt(5)
	v_mul_f64 v[88:89], v[62:63], v[13:14]
	v_mul_f64 v[13:14], v[60:61], v[13:14]
	v_mul_f64 v[2:3], v[39:40], v[2:3]
	v_mul_f64 v[9:10], v[43:44], v[9:10]
	s_waitcnt vmcnt(4) lgkmcnt(2)
	v_mul_f64 v[90:91], v[74:75], v[21:22]
	s_waitcnt vmcnt(2)
	v_mul_f64 v[92:93], v[66:67], v[29:30]
	s_waitcnt vmcnt(1) lgkmcnt(0)
	v_mul_f64 v[94:95], v[82:83], v[33:34]
	v_mul_f64 v[21:22], v[72:73], v[21:22]
	v_fma_f64 v[39:40], v[39:40], v[0:1], -v[84:85]
	v_mul_f64 v[84:85], v[70:71], v[17:18]
	v_mul_f64 v[17:18], v[68:69], v[17:18]
	v_fma_f64 v[43:44], v[43:44], v[7:8], -v[86:87]
	v_mul_f64 v[86:87], v[78:79], v[25:26]
	v_fma_f64 v[60:61], v[60:61], v[11:12], -v[88:89]
	v_fma_f64 v[11:12], v[62:63], v[11:12], v[13:14]
	v_mul_f64 v[13:14], v[64:65], v[29:30]
	v_mul_f64 v[25:26], v[76:77], v[25:26]
	;; [unrolled: 1-line block ×3, first 2 shown]
	v_fma_f64 v[41:42], v[41:42], v[0:1], v[2:3]
	ds_read_b128 v[0:3], v59 offset:2400
	v_fma_f64 v[45:46], v[45:46], v[7:8], v[9:10]
	ds_read_b128 v[7:10], v59
	v_fma_f64 v[62:63], v[72:73], v[19:20], -v[90:91]
	v_fma_f64 v[64:65], v[64:65], v[27:28], -v[92:93]
	v_fma_f64 v[19:20], v[74:75], v[19:20], v[21:22]
	s_waitcnt vmcnt(0) lgkmcnt(0)
	s_barrier
	buffer_gl0_inv
	v_fma_f64 v[33:34], v[68:69], v[15:16], -v[84:85]
	v_fma_f64 v[15:16], v[70:71], v[15:16], v[17:18]
	v_fma_f64 v[70:71], v[80:81], v[31:32], -v[94:95]
	v_fma_f64 v[68:69], v[76:77], v[23:24], -v[86:87]
	v_add_f64 v[72:73], v[39:40], -v[43:44]
	v_add_f64 v[76:77], v[43:44], -v[39:40]
	v_fma_f64 v[13:14], v[66:67], v[27:28], v[13:14]
	v_fma_f64 v[21:22], v[78:79], v[23:24], v[25:26]
	v_mul_f64 v[17:18], v[2:3], v[37:38]
	v_mul_f64 v[37:38], v[0:1], v[37:38]
	v_fma_f64 v[23:24], v[82:83], v[31:32], v[29:30]
	v_add_f64 v[29:30], v[45:46], v[11:12]
	v_add_f64 v[80:81], v[64:65], -v[62:63]
	v_add_f64 v[88:89], v[62:63], -v[64:65]
	v_add_f64 v[25:26], v[39:40], v[33:34]
	v_add_f64 v[31:32], v[41:42], v[15:16]
	v_add_f64 v[66:67], v[64:65], v[70:71]
	v_add_f64 v[27:28], v[62:63], v[68:69]
	v_add_f64 v[74:75], v[33:34], -v[60:61]
	v_add_f64 v[78:79], v[60:61], -v[33:34]
	;; [unrolled: 1-line block ×3, first 2 shown]
	v_add_f64 v[82:83], v[19:20], v[21:22]
	v_fma_f64 v[0:1], v[0:1], v[35:36], -v[17:18]
	v_add_f64 v[17:18], v[43:44], v[60:61]
	v_fma_f64 v[2:3], v[2:3], v[35:36], v[37:38]
	v_add_f64 v[84:85], v[13:14], v[23:24]
	v_add_f64 v[35:36], v[7:8], v[39:40]
	;; [unrolled: 1-line block ×3, first 2 shown]
	v_add_f64 v[90:91], v[68:69], -v[70:71]
	v_add_f64 v[92:93], v[13:14], -v[19:20]
	;; [unrolled: 1-line block ×4, first 2 shown]
	v_add_f64 v[72:73], v[72:73], v[74:75]
	v_add_f64 v[74:75], v[19:20], -v[13:14]
	v_add_f64 v[76:77], v[76:77], v[78:79]
	v_add_f64 v[78:79], v[21:22], -v[23:24]
	v_add_f64 v[80:81], v[80:81], v[86:87]
	v_fma_f64 v[17:18], v[17:18], -0.5, v[7:8]
	v_fma_f64 v[7:8], v[25:26], -0.5, v[7:8]
	;; [unrolled: 1-line block ×5, first 2 shown]
	v_add_f64 v[29:30], v[19:20], -v[21:22]
	v_fma_f64 v[31:32], v[66:67], -0.5, v[0:1]
	v_add_f64 v[66:67], v[23:24], -v[21:22]
	v_add_f64 v[0:1], v[0:1], v[64:65]
	v_add_f64 v[13:14], v[2:3], v[13:14]
	v_add_f64 v[64:65], v[64:65], -v[70:71]
	v_fma_f64 v[82:83], v[82:83], -0.5, v[2:3]
	v_fma_f64 v[2:3], v[84:85], -0.5, v[2:3]
	v_add_f64 v[84:85], v[62:63], -v[68:69]
	v_add_f64 v[88:89], v[88:89], v[90:91]
	v_add_f64 v[37:38], v[37:38], v[45:46]
	;; [unrolled: 1-line block ×3, first 2 shown]
	v_add_f64 v[43:44], v[43:44], -v[60:61]
	v_add_f64 v[74:75], v[74:75], v[78:79]
	v_fma_f64 v[86:87], v[94:95], s[4:5], v[25:26]
	v_fma_f64 v[25:26], v[94:95], s[0:1], v[25:26]
	;; [unrolled: 1-line block ×4, first 2 shown]
	v_add_f64 v[66:67], v[92:93], v[66:67]
	v_add_f64 v[0:1], v[0:1], v[62:63]
	;; [unrolled: 1-line block ×3, first 2 shown]
	v_fma_f64 v[78:79], v[64:65], s[0:1], v[82:83]
	v_fma_f64 v[82:83], v[64:65], s[4:5], v[82:83]
	;; [unrolled: 1-line block ×4, first 2 shown]
	v_add_f64 v[35:36], v[35:36], v[60:61]
	v_fma_f64 v[86:87], v[29:30], s[6:7], v[86:87]
	v_fma_f64 v[25:26], v[29:30], s[8:9], v[25:26]
	v_add_f64 v[29:30], v[41:42], -v[45:46]
	v_fma_f64 v[90:91], v[94:95], s[6:7], v[90:91]
	v_fma_f64 v[31:32], v[94:95], s[8:9], v[31:32]
	v_add_f64 v[94:95], v[45:46], -v[41:42]
	v_add_f64 v[41:42], v[41:42], -v[15:16]
	;; [unrolled: 1-line block ×3, first 2 shown]
	v_fma_f64 v[78:79], v[84:85], s[8:9], v[78:79]
	v_fma_f64 v[82:83], v[84:85], s[6:7], v[82:83]
	;; [unrolled: 1-line block ×4, first 2 shown]
	v_add_f64 v[64:65], v[15:16], -v[11:12]
	v_add_f64 v[84:85], v[11:12], -v[15:16]
	v_add_f64 v[11:12], v[37:38], v[11:12]
	v_add_f64 v[0:1], v[0:1], v[68:69]
	;; [unrolled: 1-line block ×4, first 2 shown]
	v_fma_f64 v[86:87], v[80:81], s[14:15], v[86:87]
	v_fma_f64 v[25:26], v[80:81], s[14:15], v[25:26]
	;; [unrolled: 1-line block ×16, first 2 shown]
	v_add_f64 v[29:30], v[29:30], v[64:65]
	v_add_f64 v[64:65], v[94:95], v[84:85]
	v_add_f64 v[15:16], v[11:12], v[15:16]
	v_add_f64 v[0:1], v[0:1], v[70:71]
	v_add_f64 v[13:14], v[13:14], v[23:24]
	v_fma_f64 v[37:38], v[43:44], s[8:9], v[80:81]
	v_fma_f64 v[27:28], v[43:44], s[6:7], v[27:28]
	v_mul_f64 v[68:69], v[31:32], s[14:15]
	v_mul_f64 v[74:75], v[88:89], s[0:1]
	v_fma_f64 v[19:20], v[45:46], s[6:7], v[19:20]
	v_fma_f64 v[17:18], v[45:46], s[8:9], v[17:18]
	;; [unrolled: 1-line block ×3, first 2 shown]
	v_mul_f64 v[45:46], v[78:79], s[6:7]
	v_mul_f64 v[60:61], v[92:93], s[4:5]
	v_mul_f64 v[62:63], v[86:87], s[8:9]
	v_fma_f64 v[7:8], v[41:42], s[8:9], v[7:8]
	v_fma_f64 v[41:42], v[39:40], s[8:9], v[90:91]
	;; [unrolled: 1-line block ×3, first 2 shown]
	v_mul_f64 v[43:44], v[2:3], s[14:15]
	v_mul_f64 v[39:40], v[25:26], s[16:17]
	;; [unrolled: 1-line block ×3, first 2 shown]
	v_add_f64 v[11:12], v[33:34], -v[0:1]
	v_fma_f64 v[2:3], v[2:3], s[4:5], -v[68:69]
	v_fma_f64 v[68:69], v[92:93], s[14:15], v[74:75]
	v_fma_f64 v[23:24], v[72:73], s[14:15], v[19:20]
	;; [unrolled: 1-line block ×11, first 2 shown]
	v_fma_f64 v[43:44], v[31:32], s[0:1], -v[43:44]
	v_fma_f64 v[72:73], v[29:30], s[14:15], v[27:28]
	v_fma_f64 v[66:67], v[66:67], s[6:7], -v[39:40]
	v_fma_f64 v[74:75], v[25:26], s[8:9], -v[80:81]
	v_add_f64 v[7:8], v[33:34], v[0:1]
	v_add_f64 v[9:10], v[15:16], v[13:14]
	v_add_f64 v[13:14], v[15:16], -v[13:14]
	v_cmp_gt_u32_e64 s0, 50, v52
	v_add_f64 v[15:16], v[23:24], v[37:38]
	v_add_f64 v[19:20], v[35:36], v[45:46]
	;; [unrolled: 1-line block ×3, first 2 shown]
	v_add_f64 v[25:26], v[21:22], -v[60:61]
	v_add_f64 v[21:22], v[41:42], v[68:69]
	v_add_f64 v[27:28], v[62:63], v[2:3]
	;; [unrolled: 1-line block ×3, first 2 shown]
	v_add_f64 v[23:24], v[23:24], -v[37:38]
	v_add_f64 v[31:32], v[35:36], -v[45:46]
	v_add_f64 v[35:36], v[70:71], v[66:67]
	v_add_f64 v[37:38], v[72:73], v[74:75]
	v_add_f64 v[33:34], v[41:42], -v[68:69]
	v_add_f64 v[39:40], v[62:63], -v[2:3]
	;; [unrolled: 1-line block ×5, first 2 shown]
	ds_write_b128 v4, v[7:10]
	ds_write_b128 v4, v[11:14] offset:4000
	ds_write_b128 v4, v[15:18] offset:800
	;; [unrolled: 1-line block ×9, first 2 shown]
	s_waitcnt lgkmcnt(0)
	s_barrier
	buffer_gl0_inv
	ds_read_b128 v[20:23], v59
	ds_read_b128 v[12:15], v59 offset:2400
	ds_read_b128 v[36:39], v59 offset:16000
	;; [unrolled: 1-line block ×8, first 2 shown]
                                        ; implicit-def: $vgpr10_vgpr11
                                        ; implicit-def: $vgpr6_vgpr7
	s_and_saveexec_b32 s1, s0
	s_cbranch_execz .LBB0_21
; %bb.20:
	ds_read_b128 v[0:3], v59 offset:7200
	ds_read_b128 v[4:7], v59 offset:15200
	;; [unrolled: 1-line block ×3, first 2 shown]
.LBB0_21:
	s_or_b32 exec_lo, exec_lo, s1
	v_lshlrev_b32_e32 v60, 1, v52
	v_mov_b32_e32 v61, v56
	v_lshlrev_b32_e32 v55, 1, v55
	s_mov_b32 s4, 0xe8584caa
	s_mov_b32 s5, 0x3febb67a
	;; [unrolled: 1-line block ×3, first 2 shown]
	v_lshlrev_b64 v[60:61], 4, v[60:61]
	v_lshlrev_b64 v[68:69], 4, v[55:56]
	v_lshlrev_b32_e32 v55, 1, v57
	s_mov_b32 s6, s4
	v_add_co_u32 v54, s1, s12, v60
	v_add_co_ci_u32_e64 v58, s1, s13, v61, s1
	v_add_co_u32 v60, s1, 0x1800, v54
	v_add_co_ci_u32_e64 v61, s1, 0, v58, s1
	;; [unrolled: 2-line block ×4, first 2 shown]
	v_lshlrev_b64 v[54:55], 4, v[55:56]
	v_add_co_u32 v68, s1, 0x1ef0, v57
	v_add_co_ci_u32_e64 v69, s1, 0, v58, s1
	s_clause 0x1
	global_load_dwordx4 v[60:63], v[60:61], off offset:1776
	global_load_dwordx4 v[64:67], v[64:65], off offset:16
	v_add_co_u32 v56, s1, s12, v54
	v_add_co_ci_u32_e64 v70, s1, s13, v55, s1
	v_add_co_u32 v54, s1, 0x1800, v57
	v_add_co_ci_u32_e64 v55, s1, 0, v58, s1
	;; [unrolled: 2-line block ×4, first 2 shown]
	s_clause 0x3
	global_load_dwordx4 v[54:57], v[54:55], off offset:1776
	global_load_dwordx4 v[68:71], v[68:69], off offset:16
	;; [unrolled: 1-line block ×4, first 2 shown]
	s_waitcnt vmcnt(0) lgkmcnt(0)
	s_barrier
	buffer_gl0_inv
	v_mul_f64 v[80:81], v[46:47], v[62:63]
	v_mul_f64 v[82:83], v[38:39], v[66:67]
	v_mul_f64 v[62:63], v[44:45], v[62:63]
	v_mul_f64 v[66:67], v[36:37], v[66:67]
	v_mul_f64 v[84:85], v[42:43], v[56:57]
	v_mul_f64 v[86:87], v[26:27], v[70:71]
	v_mul_f64 v[56:57], v[40:41], v[56:57]
	v_mul_f64 v[70:71], v[24:25], v[70:71]
	v_mul_f64 v[88:89], v[30:31], v[74:75]
	v_mul_f64 v[90:91], v[34:35], v[78:79]
	v_mul_f64 v[74:75], v[28:29], v[74:75]
	v_mul_f64 v[78:79], v[32:33], v[78:79]
	v_fma_f64 v[44:45], v[44:45], v[60:61], -v[80:81]
	v_fma_f64 v[36:37], v[36:37], v[64:65], -v[82:83]
	v_fma_f64 v[46:47], v[46:47], v[60:61], v[62:63]
	v_fma_f64 v[38:39], v[38:39], v[64:65], v[66:67]
	v_fma_f64 v[40:41], v[40:41], v[54:55], -v[84:85]
	v_fma_f64 v[24:25], v[24:25], v[68:69], -v[86:87]
	v_fma_f64 v[42:43], v[42:43], v[54:55], v[56:57]
	v_fma_f64 v[26:27], v[26:27], v[68:69], v[70:71]
	;; [unrolled: 4-line block ×3, first 2 shown]
	v_add_f64 v[68:69], v[20:21], v[44:45]
	v_add_f64 v[54:55], v[44:45], v[36:37]
	v_add_f64 v[44:45], v[44:45], -v[36:37]
	v_add_f64 v[56:57], v[46:47], v[38:39]
	v_add_f64 v[70:71], v[46:47], -v[38:39]
	v_add_f64 v[46:47], v[22:23], v[46:47]
	v_add_f64 v[72:73], v[12:13], v[40:41]
	;; [unrolled: 1-line block ×9, first 2 shown]
	v_add_f64 v[42:43], v[42:43], -v[26:27]
	v_fma_f64 v[54:55], v[54:55], -0.5, v[20:21]
	v_add_f64 v[40:41], v[40:41], -v[24:25]
	v_fma_f64 v[56:57], v[56:57], -0.5, v[22:23]
	v_add_f64 v[80:81], v[30:31], -v[34:35]
	v_add_f64 v[82:83], v[28:29], -v[32:33]
	v_fma_f64 v[60:61], v[60:61], -0.5, v[12:13]
	v_add_f64 v[12:13], v[68:69], v[36:37]
	v_fma_f64 v[62:63], v[62:63], -0.5, v[14:15]
	v_add_f64 v[14:15], v[46:47], v[38:39]
	;; [unrolled: 2-line block ×4, first 2 shown]
	v_add_f64 v[20:21], v[76:77], v[32:33]
	v_add_f64 v[22:23], v[78:79], v[34:35]
	v_fma_f64 v[24:25], v[70:71], s[4:5], v[54:55]
	v_fma_f64 v[26:27], v[44:45], s[6:7], v[56:57]
	v_fma_f64 v[28:29], v[70:71], s[6:7], v[54:55]
	v_fma_f64 v[30:31], v[44:45], s[4:5], v[56:57]
	v_fma_f64 v[32:33], v[42:43], s[4:5], v[60:61]
	v_fma_f64 v[36:37], v[42:43], s[6:7], v[60:61]
	v_fma_f64 v[34:35], v[40:41], s[6:7], v[62:63]
	v_fma_f64 v[38:39], v[40:41], s[4:5], v[62:63]
	v_fma_f64 v[40:41], v[80:81], s[4:5], v[64:65]
	v_fma_f64 v[44:45], v[80:81], s[6:7], v[64:65]
	v_fma_f64 v[42:43], v[82:83], s[6:7], v[66:67]
	v_fma_f64 v[46:47], v[82:83], s[4:5], v[66:67]
	ds_write_b128 v59, v[12:15]
	ds_write_b128 v59, v[16:19] offset:2400
	ds_write_b128 v59, v[20:23] offset:4800
	ds_write_b128 v59, v[24:27] offset:8000
	ds_write_b128 v59, v[28:31] offset:16000
	ds_write_b128 v59, v[32:35] offset:10400
	ds_write_b128 v59, v[36:39] offset:18400
	ds_write_b128 v59, v[40:43] offset:12800
	ds_write_b128 v59, v[44:47] offset:20800
	s_and_saveexec_b32 s1, s0
	s_cbranch_execz .LBB0_23
; %bb.22:
	v_subrev_nc_u32_e32 v12, 50, v52
	v_mov_b32_e32 v13, 0
	v_cndmask_b32_e64 v12, v12, v53, s0
	v_lshlrev_b32_e32 v12, 1, v12
	v_lshlrev_b64 v[12:13], 4, v[12:13]
	v_add_co_u32 v14, s0, s12, v12
	v_add_co_ci_u32_e64 v15, s0, s13, v13, s0
	v_add_co_u32 v12, s0, 0x1800, v14
	v_add_co_ci_u32_e64 v13, s0, 0, v15, s0
	;; [unrolled: 2-line block ×3, first 2 shown]
	s_clause 0x1
	global_load_dwordx4 v[12:15], v[12:13], off offset:1776
	global_load_dwordx4 v[16:19], v[16:17], off offset:16
	s_waitcnt vmcnt(1)
	v_mul_f64 v[20:21], v[4:5], v[14:15]
	s_waitcnt vmcnt(0)
	v_mul_f64 v[22:23], v[8:9], v[18:19]
	v_mul_f64 v[14:15], v[6:7], v[14:15]
	;; [unrolled: 1-line block ×3, first 2 shown]
	v_fma_f64 v[6:7], v[6:7], v[12:13], v[20:21]
	v_fma_f64 v[10:11], v[10:11], v[16:17], v[22:23]
	v_fma_f64 v[4:5], v[4:5], v[12:13], -v[14:15]
	v_fma_f64 v[8:9], v[8:9], v[16:17], -v[18:19]
	v_add_f64 v[18:19], v[2:3], v[6:7]
	v_add_f64 v[12:13], v[6:7], v[10:11]
	v_add_f64 v[20:21], v[6:7], -v[10:11]
	v_add_f64 v[14:15], v[4:5], v[8:9]
	v_add_f64 v[16:17], v[4:5], -v[8:9]
	v_add_f64 v[4:5], v[0:1], v[4:5]
	v_fma_f64 v[12:13], v[12:13], -0.5, v[2:3]
	v_add_f64 v[2:3], v[18:19], v[10:11]
	v_fma_f64 v[14:15], v[14:15], -0.5, v[0:1]
	v_add_f64 v[0:1], v[4:5], v[8:9]
	v_fma_f64 v[10:11], v[16:17], s[6:7], v[12:13]
	v_fma_f64 v[6:7], v[16:17], s[4:5], v[12:13]
	;; [unrolled: 1-line block ×4, first 2 shown]
	ds_write_b128 v59, v[0:3] offset:7200
	ds_write_b128 v59, v[8:11] offset:15200
	;; [unrolled: 1-line block ×3, first 2 shown]
.LBB0_23:
	s_or_b32 exec_lo, exec_lo, s1
	s_waitcnt lgkmcnt(0)
	s_barrier
	buffer_gl0_inv
	s_and_saveexec_b32 s0, vcc_lo
	s_cbranch_execz .LBB0_25
; %bb.24:
	v_mul_lo_u32 v2, s3, v50
	v_mul_lo_u32 v3, s2, v51
	v_mad_u64_u32 v[0:1], null, s2, v50, 0
	v_mov_b32_e32 v53, 0
	v_lshl_add_u32 v30, v52, 4, 0
	v_lshlrev_b64 v[12:13], 4, v[48:49]
	v_add_nc_u32_e32 v14, 0x96, v52
	v_add_nc_u32_e32 v16, 0x12c, v52
	v_mov_b32_e32 v15, v53
	v_add3_u32 v1, v1, v3, v2
	v_lshlrev_b64 v[18:19], 4, v[52:53]
	v_mov_b32_e32 v17, v53
	v_add_nc_u32_e32 v28, 0x258, v52
	v_mov_b32_e32 v29, v53
	v_lshlrev_b64 v[8:9], 4, v[0:1]
	ds_read_b128 v[0:3], v30
	ds_read_b128 v[4:7], v30 offset:2400
	v_add_co_u32 v20, vcc_lo, s10, v8
	v_add_co_ci_u32_e32 v21, vcc_lo, s11, v9, vcc_lo
	ds_read_b128 v[8:11], v30 offset:4800
	v_add_co_u32 v31, vcc_lo, v20, v12
	v_add_co_ci_u32_e32 v32, vcc_lo, v21, v13, vcc_lo
	v_lshlrev_b64 v[12:13], 4, v[14:15]
	v_add_co_u32 v20, vcc_lo, v31, v18
	v_lshlrev_b64 v[14:15], 4, v[16:17]
	v_add_nc_u32_e32 v16, 0x1c2, v52
	v_add_co_ci_u32_e32 v21, vcc_lo, v32, v19, vcc_lo
	v_add_co_u32 v22, vcc_lo, v31, v12
	v_add_co_ci_u32_e32 v23, vcc_lo, v32, v13, vcc_lo
	v_lshlrev_b64 v[26:27], 4, v[16:17]
	ds_read_b128 v[16:19], v30 offset:9600
	v_add_co_u32 v24, vcc_lo, v31, v14
	v_add_co_ci_u32_e32 v25, vcc_lo, v32, v15, vcc_lo
	ds_read_b128 v[12:15], v30 offset:7200
	s_waitcnt lgkmcnt(4)
	global_store_dwordx4 v[20:21], v[0:3], off
	s_waitcnt lgkmcnt(3)
	global_store_dwordx4 v[22:23], v[4:7], off
	;; [unrolled: 2-line block ×3, first 2 shown]
	v_lshlrev_b64 v[0:1], 4, v[28:29]
	v_add_co_u32 v2, vcc_lo, v31, v26
	v_add_co_ci_u32_e32 v3, vcc_lo, v32, v27, vcc_lo
	v_add_nc_u32_e32 v4, 0x2ee, v52
	v_mov_b32_e32 v5, v53
	v_add_co_u32 v6, vcc_lo, v31, v0
	v_add_co_ci_u32_e32 v7, vcc_lo, v32, v1, vcc_lo
	v_add_nc_u32_e32 v8, 0x384, v52
	v_mov_b32_e32 v9, v53
	v_lshlrev_b64 v[4:5], 4, v[4:5]
	s_waitcnt lgkmcnt(1)
	global_store_dwordx4 v[6:7], v[16:19], off
	v_add_nc_u32_e32 v24, 0x4b0, v52
	v_mov_b32_e32 v25, v53
	v_lshlrev_b64 v[6:7], 4, v[8:9]
	s_waitcnt lgkmcnt(0)
	global_store_dwordx4 v[2:3], v[12:15], off
	v_add_co_u32 v20, vcc_lo, v31, v4
	v_add_nc_u32_e32 v12, 0x41a, v52
	v_mov_b32_e32 v13, v53
	v_add_co_ci_u32_e32 v21, vcc_lo, v32, v5, vcc_lo
	v_add_co_u32 v22, vcc_lo, v31, v6
	ds_read_b128 v[0:3], v30 offset:12000
	v_add_co_ci_u32_e32 v23, vcc_lo, v32, v7, vcc_lo
	ds_read_b128 v[4:7], v30 offset:14400
	ds_read_b128 v[8:11], v30 offset:16800
	v_lshlrev_b64 v[26:27], 4, v[12:13]
	ds_read_b128 v[12:15], v30 offset:19200
	ds_read_b128 v[16:19], v30 offset:21600
	v_add_nc_u32_e32 v52, 0x546, v52
	v_lshlrev_b64 v[24:25], 4, v[24:25]
	v_add_co_u32 v26, vcc_lo, v31, v26
	v_lshlrev_b64 v[28:29], 4, v[52:53]
	v_add_co_ci_u32_e32 v27, vcc_lo, v32, v27, vcc_lo
	v_add_co_u32 v24, vcc_lo, v31, v24
	v_add_co_ci_u32_e32 v25, vcc_lo, v32, v25, vcc_lo
	v_add_co_u32 v28, vcc_lo, v31, v28
	v_add_co_ci_u32_e32 v29, vcc_lo, v32, v29, vcc_lo
	s_waitcnt lgkmcnt(4)
	global_store_dwordx4 v[20:21], v[0:3], off
	s_waitcnt lgkmcnt(3)
	global_store_dwordx4 v[22:23], v[4:7], off
	;; [unrolled: 2-line block ×5, first 2 shown]
.LBB0_25:
	s_endpgm
	.section	.rodata,"a",@progbits
	.p2align	6, 0x0
	.amdhsa_kernel fft_rtc_fwd_len1500_factors_5_10_10_3_wgs_150_tpt_150_halfLds_dp_op_CI_CI_unitstride_sbrr_C2R_dirReg
		.amdhsa_group_segment_fixed_size 0
		.amdhsa_private_segment_fixed_size 0
		.amdhsa_kernarg_size 104
		.amdhsa_user_sgpr_count 6
		.amdhsa_user_sgpr_private_segment_buffer 1
		.amdhsa_user_sgpr_dispatch_ptr 0
		.amdhsa_user_sgpr_queue_ptr 0
		.amdhsa_user_sgpr_kernarg_segment_ptr 1
		.amdhsa_user_sgpr_dispatch_id 0
		.amdhsa_user_sgpr_flat_scratch_init 0
		.amdhsa_user_sgpr_private_segment_size 0
		.amdhsa_wavefront_size32 1
		.amdhsa_uses_dynamic_stack 0
		.amdhsa_system_sgpr_private_segment_wavefront_offset 0
		.amdhsa_system_sgpr_workgroup_id_x 1
		.amdhsa_system_sgpr_workgroup_id_y 0
		.amdhsa_system_sgpr_workgroup_id_z 0
		.amdhsa_system_sgpr_workgroup_info 0
		.amdhsa_system_vgpr_workitem_id 0
		.amdhsa_next_free_vgpr 98
		.amdhsa_next_free_sgpr 27
		.amdhsa_reserve_vcc 1
		.amdhsa_reserve_flat_scratch 0
		.amdhsa_float_round_mode_32 0
		.amdhsa_float_round_mode_16_64 0
		.amdhsa_float_denorm_mode_32 3
		.amdhsa_float_denorm_mode_16_64 3
		.amdhsa_dx10_clamp 1
		.amdhsa_ieee_mode 1
		.amdhsa_fp16_overflow 0
		.amdhsa_workgroup_processor_mode 1
		.amdhsa_memory_ordered 1
		.amdhsa_forward_progress 0
		.amdhsa_shared_vgpr_count 0
		.amdhsa_exception_fp_ieee_invalid_op 0
		.amdhsa_exception_fp_denorm_src 0
		.amdhsa_exception_fp_ieee_div_zero 0
		.amdhsa_exception_fp_ieee_overflow 0
		.amdhsa_exception_fp_ieee_underflow 0
		.amdhsa_exception_fp_ieee_inexact 0
		.amdhsa_exception_int_div_zero 0
	.end_amdhsa_kernel
	.text
.Lfunc_end0:
	.size	fft_rtc_fwd_len1500_factors_5_10_10_3_wgs_150_tpt_150_halfLds_dp_op_CI_CI_unitstride_sbrr_C2R_dirReg, .Lfunc_end0-fft_rtc_fwd_len1500_factors_5_10_10_3_wgs_150_tpt_150_halfLds_dp_op_CI_CI_unitstride_sbrr_C2R_dirReg
                                        ; -- End function
	.section	.AMDGPU.csdata,"",@progbits
; Kernel info:
; codeLenInByte = 9712
; NumSgprs: 29
; NumVgprs: 98
; ScratchSize: 0
; MemoryBound: 0
; FloatMode: 240
; IeeeMode: 1
; LDSByteSize: 0 bytes/workgroup (compile time only)
; SGPRBlocks: 3
; VGPRBlocks: 12
; NumSGPRsForWavesPerEU: 29
; NumVGPRsForWavesPerEU: 98
; Occupancy: 9
; WaveLimiterHint : 1
; COMPUTE_PGM_RSRC2:SCRATCH_EN: 0
; COMPUTE_PGM_RSRC2:USER_SGPR: 6
; COMPUTE_PGM_RSRC2:TRAP_HANDLER: 0
; COMPUTE_PGM_RSRC2:TGID_X_EN: 1
; COMPUTE_PGM_RSRC2:TGID_Y_EN: 0
; COMPUTE_PGM_RSRC2:TGID_Z_EN: 0
; COMPUTE_PGM_RSRC2:TIDIG_COMP_CNT: 0
	.text
	.p2alignl 6, 3214868480
	.fill 48, 4, 3214868480
	.type	__hip_cuid_b37d98066a7db513,@object ; @__hip_cuid_b37d98066a7db513
	.section	.bss,"aw",@nobits
	.globl	__hip_cuid_b37d98066a7db513
__hip_cuid_b37d98066a7db513:
	.byte	0                               ; 0x0
	.size	__hip_cuid_b37d98066a7db513, 1

	.ident	"AMD clang version 19.0.0git (https://github.com/RadeonOpenCompute/llvm-project roc-6.4.0 25133 c7fe45cf4b819c5991fe208aaa96edf142730f1d)"
	.section	".note.GNU-stack","",@progbits
	.addrsig
	.addrsig_sym __hip_cuid_b37d98066a7db513
	.amdgpu_metadata
---
amdhsa.kernels:
  - .args:
      - .actual_access:  read_only
        .address_space:  global
        .offset:         0
        .size:           8
        .value_kind:     global_buffer
      - .offset:         8
        .size:           8
        .value_kind:     by_value
      - .actual_access:  read_only
        .address_space:  global
        .offset:         16
        .size:           8
        .value_kind:     global_buffer
      - .actual_access:  read_only
        .address_space:  global
        .offset:         24
        .size:           8
        .value_kind:     global_buffer
      - .actual_access:  read_only
        .address_space:  global
        .offset:         32
        .size:           8
        .value_kind:     global_buffer
      - .offset:         40
        .size:           8
        .value_kind:     by_value
      - .actual_access:  read_only
        .address_space:  global
        .offset:         48
        .size:           8
        .value_kind:     global_buffer
      - .actual_access:  read_only
        .address_space:  global
        .offset:         56
        .size:           8
        .value_kind:     global_buffer
      - .offset:         64
        .size:           4
        .value_kind:     by_value
      - .actual_access:  read_only
        .address_space:  global
        .offset:         72
        .size:           8
        .value_kind:     global_buffer
      - .actual_access:  read_only
        .address_space:  global
        .offset:         80
        .size:           8
        .value_kind:     global_buffer
      - .actual_access:  read_only
        .address_space:  global
        .offset:         88
        .size:           8
        .value_kind:     global_buffer
      - .actual_access:  write_only
        .address_space:  global
        .offset:         96
        .size:           8
        .value_kind:     global_buffer
    .group_segment_fixed_size: 0
    .kernarg_segment_align: 8
    .kernarg_segment_size: 104
    .language:       OpenCL C
    .language_version:
      - 2
      - 0
    .max_flat_workgroup_size: 150
    .name:           fft_rtc_fwd_len1500_factors_5_10_10_3_wgs_150_tpt_150_halfLds_dp_op_CI_CI_unitstride_sbrr_C2R_dirReg
    .private_segment_fixed_size: 0
    .sgpr_count:     29
    .sgpr_spill_count: 0
    .symbol:         fft_rtc_fwd_len1500_factors_5_10_10_3_wgs_150_tpt_150_halfLds_dp_op_CI_CI_unitstride_sbrr_C2R_dirReg.kd
    .uniform_work_group_size: 1
    .uses_dynamic_stack: false
    .vgpr_count:     98
    .vgpr_spill_count: 0
    .wavefront_size: 32
    .workgroup_processor_mode: 1
amdhsa.target:   amdgcn-amd-amdhsa--gfx1030
amdhsa.version:
  - 1
  - 2
...

	.end_amdgpu_metadata
